;; amdgpu-corpus repo=ROCm/rocFFT kind=compiled arch=gfx1030 opt=O3
	.text
	.amdgcn_target "amdgcn-amd-amdhsa--gfx1030"
	.amdhsa_code_object_version 6
	.protected	fft_rtc_fwd_len1496_factors_17_8_11_wgs_187_tpt_187_halfLds_dp_ip_CI_unitstride_sbrr_dirReg ; -- Begin function fft_rtc_fwd_len1496_factors_17_8_11_wgs_187_tpt_187_halfLds_dp_ip_CI_unitstride_sbrr_dirReg
	.globl	fft_rtc_fwd_len1496_factors_17_8_11_wgs_187_tpt_187_halfLds_dp_ip_CI_unitstride_sbrr_dirReg
	.p2align	8
	.type	fft_rtc_fwd_len1496_factors_17_8_11_wgs_187_tpt_187_halfLds_dp_ip_CI_unitstride_sbrr_dirReg,@function
fft_rtc_fwd_len1496_factors_17_8_11_wgs_187_tpt_187_halfLds_dp_ip_CI_unitstride_sbrr_dirReg: ; @fft_rtc_fwd_len1496_factors_17_8_11_wgs_187_tpt_187_halfLds_dp_ip_CI_unitstride_sbrr_dirReg
; %bb.0:
	s_clause 0x2
	s_load_dwordx4 s[8:11], s[4:5], 0x0
	s_load_dwordx2 s[2:3], s[4:5], 0x50
	s_load_dwordx2 s[12:13], s[4:5], 0x18
	v_mul_u32_u24_e32 v1, 0x15f, v0
	v_mov_b32_e32 v3, 0
	v_add_nc_u32_sdwa v5, s6, v1 dst_sel:DWORD dst_unused:UNUSED_PAD src0_sel:DWORD src1_sel:WORD_1
	v_mov_b32_e32 v1, 0
	v_mov_b32_e32 v6, v3
	v_mov_b32_e32 v2, 0
	s_waitcnt lgkmcnt(0)
	v_cmp_lt_u64_e64 s0, s[10:11], 2
	s_and_b32 vcc_lo, exec_lo, s0
	s_cbranch_vccnz .LBB0_8
; %bb.1:
	s_load_dwordx2 s[0:1], s[4:5], 0x10
	v_mov_b32_e32 v1, 0
	s_add_u32 s6, s12, 8
	v_mov_b32_e32 v2, 0
	s_addc_u32 s7, s13, 0
	s_mov_b64 s[16:17], 1
	s_waitcnt lgkmcnt(0)
	s_add_u32 s14, s0, 8
	s_addc_u32 s15, s1, 0
.LBB0_2:                                ; =>This Inner Loop Header: Depth=1
	s_load_dwordx2 s[18:19], s[14:15], 0x0
                                        ; implicit-def: $vgpr7_vgpr8
	s_mov_b32 s0, exec_lo
	s_waitcnt lgkmcnt(0)
	v_or_b32_e32 v4, s19, v6
	v_cmpx_ne_u64_e32 0, v[3:4]
	s_xor_b32 s1, exec_lo, s0
	s_cbranch_execz .LBB0_4
; %bb.3:                                ;   in Loop: Header=BB0_2 Depth=1
	v_cvt_f32_u32_e32 v4, s18
	v_cvt_f32_u32_e32 v7, s19
	s_sub_u32 s0, 0, s18
	s_subb_u32 s20, 0, s19
	v_fmac_f32_e32 v4, 0x4f800000, v7
	v_rcp_f32_e32 v4, v4
	v_mul_f32_e32 v4, 0x5f7ffffc, v4
	v_mul_f32_e32 v7, 0x2f800000, v4
	v_trunc_f32_e32 v7, v7
	v_fmac_f32_e32 v4, 0xcf800000, v7
	v_cvt_u32_f32_e32 v7, v7
	v_cvt_u32_f32_e32 v4, v4
	v_mul_lo_u32 v8, s0, v7
	v_mul_hi_u32 v9, s0, v4
	v_mul_lo_u32 v10, s20, v4
	v_add_nc_u32_e32 v8, v9, v8
	v_mul_lo_u32 v9, s0, v4
	v_add_nc_u32_e32 v8, v8, v10
	v_mul_hi_u32 v10, v4, v9
	v_mul_lo_u32 v11, v4, v8
	v_mul_hi_u32 v12, v4, v8
	v_mul_hi_u32 v13, v7, v9
	v_mul_lo_u32 v9, v7, v9
	v_mul_hi_u32 v14, v7, v8
	v_mul_lo_u32 v8, v7, v8
	v_add_co_u32 v10, vcc_lo, v10, v11
	v_add_co_ci_u32_e32 v11, vcc_lo, 0, v12, vcc_lo
	v_add_co_u32 v9, vcc_lo, v10, v9
	v_add_co_ci_u32_e32 v9, vcc_lo, v11, v13, vcc_lo
	v_add_co_ci_u32_e32 v10, vcc_lo, 0, v14, vcc_lo
	v_add_co_u32 v8, vcc_lo, v9, v8
	v_add_co_ci_u32_e32 v9, vcc_lo, 0, v10, vcc_lo
	v_add_co_u32 v4, vcc_lo, v4, v8
	v_add_co_ci_u32_e32 v7, vcc_lo, v7, v9, vcc_lo
	v_mul_hi_u32 v8, s0, v4
	v_mul_lo_u32 v10, s20, v4
	v_mul_lo_u32 v9, s0, v7
	v_add_nc_u32_e32 v8, v8, v9
	v_mul_lo_u32 v9, s0, v4
	v_add_nc_u32_e32 v8, v8, v10
	v_mul_hi_u32 v10, v4, v9
	v_mul_lo_u32 v11, v4, v8
	v_mul_hi_u32 v12, v4, v8
	v_mul_hi_u32 v13, v7, v9
	v_mul_lo_u32 v9, v7, v9
	v_mul_hi_u32 v14, v7, v8
	v_mul_lo_u32 v8, v7, v8
	v_add_co_u32 v10, vcc_lo, v10, v11
	v_add_co_ci_u32_e32 v11, vcc_lo, 0, v12, vcc_lo
	v_add_co_u32 v9, vcc_lo, v10, v9
	v_add_co_ci_u32_e32 v9, vcc_lo, v11, v13, vcc_lo
	v_add_co_ci_u32_e32 v10, vcc_lo, 0, v14, vcc_lo
	v_add_co_u32 v8, vcc_lo, v9, v8
	v_add_co_ci_u32_e32 v9, vcc_lo, 0, v10, vcc_lo
	v_add_co_u32 v4, vcc_lo, v4, v8
	v_add_co_ci_u32_e32 v11, vcc_lo, v7, v9, vcc_lo
	v_mul_hi_u32 v13, v5, v4
	v_mad_u64_u32 v[9:10], null, v6, v4, 0
	v_mad_u64_u32 v[7:8], null, v5, v11, 0
	;; [unrolled: 1-line block ×3, first 2 shown]
	v_add_co_u32 v4, vcc_lo, v13, v7
	v_add_co_ci_u32_e32 v7, vcc_lo, 0, v8, vcc_lo
	v_add_co_u32 v4, vcc_lo, v4, v9
	v_add_co_ci_u32_e32 v4, vcc_lo, v7, v10, vcc_lo
	v_add_co_ci_u32_e32 v7, vcc_lo, 0, v12, vcc_lo
	v_add_co_u32 v4, vcc_lo, v4, v11
	v_add_co_ci_u32_e32 v9, vcc_lo, 0, v7, vcc_lo
	v_mul_lo_u32 v10, s19, v4
	v_mad_u64_u32 v[7:8], null, s18, v4, 0
	v_mul_lo_u32 v11, s18, v9
	v_sub_co_u32 v7, vcc_lo, v5, v7
	v_add3_u32 v8, v8, v11, v10
	v_sub_nc_u32_e32 v10, v6, v8
	v_subrev_co_ci_u32_e64 v10, s0, s19, v10, vcc_lo
	v_add_co_u32 v11, s0, v4, 2
	v_add_co_ci_u32_e64 v12, s0, 0, v9, s0
	v_sub_co_u32 v13, s0, v7, s18
	v_sub_co_ci_u32_e32 v8, vcc_lo, v6, v8, vcc_lo
	v_subrev_co_ci_u32_e64 v10, s0, 0, v10, s0
	v_cmp_le_u32_e32 vcc_lo, s18, v13
	v_cmp_eq_u32_e64 s0, s19, v8
	v_cndmask_b32_e64 v13, 0, -1, vcc_lo
	v_cmp_le_u32_e32 vcc_lo, s19, v10
	v_cndmask_b32_e64 v14, 0, -1, vcc_lo
	v_cmp_le_u32_e32 vcc_lo, s18, v7
	;; [unrolled: 2-line block ×3, first 2 shown]
	v_cndmask_b32_e64 v15, 0, -1, vcc_lo
	v_cmp_eq_u32_e32 vcc_lo, s19, v10
	v_cndmask_b32_e64 v7, v15, v7, s0
	v_cndmask_b32_e32 v10, v14, v13, vcc_lo
	v_add_co_u32 v13, vcc_lo, v4, 1
	v_add_co_ci_u32_e32 v14, vcc_lo, 0, v9, vcc_lo
	v_cmp_ne_u32_e32 vcc_lo, 0, v10
	v_cndmask_b32_e32 v8, v14, v12, vcc_lo
	v_cndmask_b32_e32 v10, v13, v11, vcc_lo
	v_cmp_ne_u32_e32 vcc_lo, 0, v7
	v_cndmask_b32_e32 v8, v9, v8, vcc_lo
	v_cndmask_b32_e32 v7, v4, v10, vcc_lo
.LBB0_4:                                ;   in Loop: Header=BB0_2 Depth=1
	s_andn2_saveexec_b32 s0, s1
	s_cbranch_execz .LBB0_6
; %bb.5:                                ;   in Loop: Header=BB0_2 Depth=1
	v_cvt_f32_u32_e32 v4, s18
	s_sub_i32 s1, 0, s18
	v_rcp_iflag_f32_e32 v4, v4
	v_mul_f32_e32 v4, 0x4f7ffffe, v4
	v_cvt_u32_f32_e32 v4, v4
	v_mul_lo_u32 v7, s1, v4
	v_mul_hi_u32 v7, v4, v7
	v_add_nc_u32_e32 v4, v4, v7
	v_mul_hi_u32 v4, v5, v4
	v_mul_lo_u32 v7, v4, s18
	v_add_nc_u32_e32 v8, 1, v4
	v_sub_nc_u32_e32 v7, v5, v7
	v_subrev_nc_u32_e32 v9, s18, v7
	v_cmp_le_u32_e32 vcc_lo, s18, v7
	v_cndmask_b32_e32 v7, v7, v9, vcc_lo
	v_cndmask_b32_e32 v4, v4, v8, vcc_lo
	v_cmp_le_u32_e32 vcc_lo, s18, v7
	v_add_nc_u32_e32 v8, 1, v4
	v_cndmask_b32_e32 v7, v4, v8, vcc_lo
	v_mov_b32_e32 v8, v3
.LBB0_6:                                ;   in Loop: Header=BB0_2 Depth=1
	s_or_b32 exec_lo, exec_lo, s0
	s_load_dwordx2 s[0:1], s[6:7], 0x0
	v_mul_lo_u32 v4, v8, s18
	v_mul_lo_u32 v11, v7, s19
	v_mad_u64_u32 v[9:10], null, v7, s18, 0
	s_add_u32 s16, s16, 1
	s_addc_u32 s17, s17, 0
	s_add_u32 s6, s6, 8
	s_addc_u32 s7, s7, 0
	;; [unrolled: 2-line block ×3, first 2 shown]
	v_add3_u32 v4, v10, v11, v4
	v_sub_co_u32 v5, vcc_lo, v5, v9
	v_sub_co_ci_u32_e32 v4, vcc_lo, v6, v4, vcc_lo
	s_waitcnt lgkmcnt(0)
	v_mul_lo_u32 v6, s1, v5
	v_mul_lo_u32 v4, s0, v4
	v_mad_u64_u32 v[1:2], null, s0, v5, v[1:2]
	v_cmp_ge_u64_e64 s0, s[16:17], s[10:11]
	s_and_b32 vcc_lo, exec_lo, s0
	v_add3_u32 v2, v6, v2, v4
	s_cbranch_vccnz .LBB0_9
; %bb.7:                                ;   in Loop: Header=BB0_2 Depth=1
	v_mov_b32_e32 v5, v7
	v_mov_b32_e32 v6, v8
	s_branch .LBB0_2
.LBB0_8:
	v_mov_b32_e32 v8, v6
	v_mov_b32_e32 v7, v5
.LBB0_9:
	s_lshl_b64 s[0:1], s[10:11], 3
	v_mul_hi_u32 v3, 0x15e75bc, v0
	s_add_u32 s0, s12, s0
	s_addc_u32 s1, s13, s1
                                        ; implicit-def: $vgpr72_vgpr73
                                        ; implicit-def: $vgpr64_vgpr65
                                        ; implicit-def: $vgpr60_vgpr61
                                        ; implicit-def: $vgpr44_vgpr45
                                        ; implicit-def: $vgpr12_vgpr13
                                        ; implicit-def: $vgpr16_vgpr17
                                        ; implicit-def: $vgpr20_vgpr21
                                        ; implicit-def: $vgpr28_vgpr29
                                        ; implicit-def: $vgpr36_vgpr37
                                        ; implicit-def: $vgpr48_vgpr49
                                        ; implicit-def: $vgpr52_vgpr53
                                        ; implicit-def: $vgpr24_vgpr25
                                        ; implicit-def: $vgpr32_vgpr33
                                        ; implicit-def: $vgpr40_vgpr41
                                        ; implicit-def: $vgpr56_vgpr57
                                        ; implicit-def: $vgpr68_vgpr69
	s_load_dwordx2 s[0:1], s[0:1], 0x0
	s_load_dwordx2 s[4:5], s[4:5], 0x20
	v_mul_u32_u24_e32 v3, 0xbb, v3
	v_sub_nc_u32_e32 v90, v0, v3
	s_waitcnt lgkmcnt(0)
	v_mul_lo_u32 v4, s0, v8
	v_mul_lo_u32 v5, s1, v7
	v_mad_u64_u32 v[1:2], null, s0, v7, v[1:2]
	v_cmp_gt_u64_e32 vcc_lo, s[4:5], v[7:8]
	v_cmp_gt_u32_e64 s0, 0x58, v90
                                        ; implicit-def: $vgpr8_vgpr9
	s_and_b32 s1, vcc_lo, s0
	v_add3_u32 v2, v5, v2, v4
	v_lshlrev_b64 v[92:93], 4, v[1:2]
	s_and_saveexec_b32 s4, s1
	s_cbranch_execz .LBB0_11
; %bb.10:
	v_mov_b32_e32 v91, 0
	v_add_co_u32 v16, s1, s2, v92
	v_add_co_ci_u32_e64 v17, s1, s3, v93, s1
	v_lshlrev_b64 v[0:1], 4, v[90:91]
	v_add_co_u32 v0, s1, v16, v0
	v_add_co_ci_u32_e64 v1, s1, v17, v1, s1
	v_add_co_u32 v2, s1, 0x800, v0
	v_add_co_ci_u32_e64 v3, s1, 0, v1, s1
	;; [unrolled: 2-line block ×3, first 2 shown]
	s_clause 0x3
	global_load_dwordx4 v[6:9], v[0:1], off
	global_load_dwordx4 v[70:73], v[0:1], off offset:1408
	global_load_dwordx4 v[66:69], v[2:3], off offset:768
	;; [unrolled: 1-line block ×3, first 2 shown]
	v_add_co_u32 v2, s1, 0x1800, v0
	v_add_co_ci_u32_e64 v3, s1, 0, v1, s1
	v_add_co_u32 v10, s1, 0x2000, v0
	v_add_co_ci_u32_e64 v11, s1, 0, v1, s1
	v_add_co_u32 v12, s1, 0x2800, v0
	v_add_co_ci_u32_e64 v13, s1, 0, v1, s1
	v_add_co_u32 v14, s1, 0x3000, v0
	v_add_co_ci_u32_e64 v15, s1, 0, v1, s1
	s_clause 0x5
	global_load_dwordx4 v[58:61], v[4:5], off offset:1536
	global_load_dwordx4 v[54:57], v[2:3], off offset:896
	;; [unrolled: 1-line block ×6, first 2 shown]
	v_add_co_u32 v2, s1, 0x3800, v0
	v_or_b32_e32 v10, 0x580, v90
	v_mov_b32_e32 v11, v91
	v_add_co_ci_u32_e64 v3, s1, 0, v1, s1
	v_add_co_u32 v4, s1, 0x4000, v0
	v_add_co_ci_u32_e64 v5, s1, 0, v1, s1
	v_add_co_u32 v12, s1, 0x4800, v0
	v_lshlrev_b64 v[10:11], 4, v[10:11]
	v_add_co_ci_u32_e64 v13, s1, 0, v1, s1
	v_add_co_u32 v0, s1, 0x5000, v0
	v_add_co_ci_u32_e64 v1, s1, 0, v1, s1
	v_add_co_u32 v10, s1, v16, v10
	v_add_co_ci_u32_e64 v11, s1, v17, v11, s1
	s_clause 0x6
	global_load_dwordx4 v[50:53], v[14:15], off offset:1792
	global_load_dwordx4 v[46:49], v[2:3], off offset:1152
	global_load_dwordx4 v[34:37], v[4:5], off offset:512
	global_load_dwordx4 v[26:29], v[4:5], off offset:1920
	global_load_dwordx4 v[18:21], v[12:13], off offset:1280
	global_load_dwordx4 v[14:17], v[0:1], off offset:640
	global_load_dwordx4 v[10:13], v[10:11], off
.LBB0_11:
	s_or_b32 exec_lo, exec_lo, s4
	s_waitcnt vmcnt(0)
	v_add_f64 v[4:5], v[70:71], v[10:11]
	s_mov_b32 s4, 0x7faef3
	s_mov_b32 s6, 0x910ea3b9
	;; [unrolled: 1-line block ×4, first 2 shown]
	v_add_f64 v[76:77], v[72:73], -v[12:13]
	v_add_f64 v[74:75], v[14:15], v[66:67]
	s_mov_b32 s46, 0xacd6c6b4
	s_mov_b32 s10, 0x370991
	;; [unrolled: 1-line block ×10, first 2 shown]
	v_add_f64 v[102:103], v[68:69], -v[16:17]
	v_add_f64 v[88:89], v[62:63], v[18:19]
	s_mov_b32 s28, 0x5d8e7cdc
	s_mov_b32 s24, 0x7c9e640b
	;; [unrolled: 1-line block ×3, first 2 shown]
	v_mul_f64 v[0:1], v[4:5], s[4:5]
	v_mul_f64 v[96:97], v[4:5], s[6:7]
	s_mov_b32 s29, 0xbfd71e95
	s_mov_b32 s41, 0x3fd71e95
	;; [unrolled: 1-line block ×4, first 2 shown]
	v_mul_f64 v[2:3], v[74:75], s[10:11]
	v_mul_f64 v[98:99], v[74:75], s[12:13]
	s_mov_b32 s40, s28
	v_add_f64 v[104:105], v[64:65], -v[20:21]
	v_add_f64 v[86:87], v[58:59], v[26:27]
	s_mov_b32 s16, 0x75d4884
	s_mov_b32 s18, 0x6ed5f1bb
	;; [unrolled: 1-line block ×7, first 2 shown]
	v_mul_f64 v[82:83], v[88:89], s[6:7]
	v_mul_f64 v[100:101], v[88:89], s[14:15]
	s_mov_b32 s48, s30
	v_add_f64 v[108:109], v[60:61], -v[28:29]
	v_fma_f64 v[78:79], v[76:77], s[46:47], v[0:1]
	v_fma_f64 v[0:1], v[76:77], s[22:23], v[0:1]
	;; [unrolled: 1-line block ×3, first 2 shown]
	v_add_f64 v[84:85], v[34:35], v[54:55]
	s_mov_b32 s50, 0x2a9d6da3
	s_mov_b32 s42, 0x6c9a05f6
	v_fma_f64 v[94:95], v[102:103], s[28:29], v[2:3]
	v_fma_f64 v[2:3], v[102:103], s[40:41], v[2:3]
	;; [unrolled: 1-line block ×3, first 2 shown]
	s_mov_b32 s51, 0xbfe58eea
	v_mul_f64 v[114:115], v[86:87], s[16:17]
	v_mul_f64 v[106:107], v[86:87], s[18:19]
	s_mov_b32 s27, 0x3fe58eea
	s_mov_b32 s43, 0x3fe9895b
	;; [unrolled: 1-line block ×3, first 2 shown]
	v_add_f64 v[112:113], v[56:57], -v[36:37]
	s_mov_b32 s39, 0xbfe9895b
	s_mov_b32 s38, s42
	v_fma_f64 v[116:117], v[104:105], s[48:49], v[82:83]
	v_fma_f64 v[118:119], v[104:105], s[30:31], v[82:83]
	;; [unrolled: 1-line block ×3, first 2 shown]
	v_add_f64 v[82:83], v[42:43], v[46:47]
	v_add_f64 v[78:79], v[78:79], v[6:7]
	;; [unrolled: 1-line block ×4, first 2 shown]
	s_mov_b32 s20, 0xc61f0d01
	s_mov_b32 s53, 0xbfeca52d
	;; [unrolled: 1-line block ×7, first 2 shown]
	v_fma_f64 v[122:123], v[108:109], s[50:51], v[114:115]
	v_fma_f64 v[124:125], v[108:109], s[26:27], v[114:115]
	;; [unrolled: 1-line block ×3, first 2 shown]
	s_mov_b32 s34, s54
	s_mov_b32 s37, 0x3fefdd0d
	;; [unrolled: 1-line block ×3, first 2 shown]
	v_mul_f64 v[128:129], v[82:83], s[12:13]
	v_add_f64 v[78:79], v[94:95], v[78:79]
	v_add_f64 v[0:1], v[2:3], v[0:1]
	;; [unrolled: 1-line block ×3, first 2 shown]
	v_mul_f64 v[94:95], v[84:85], s[18:19]
	v_mul_f64 v[110:111], v[84:85], s[10:11]
	v_add_f64 v[80:81], v[50:51], v[38:39]
	v_mul_f64 v[114:115], v[82:83], s[4:5]
	v_add_f64 v[78:79], v[116:117], v[78:79]
	v_add_f64 v[0:1], v[118:119], v[0:1]
	;; [unrolled: 1-line block ×3, first 2 shown]
	v_add_f64 v[116:117], v[44:45], -v[48:49]
	v_fma_f64 v[130:131], v[112:113], s[42:43], v[94:95]
	v_fma_f64 v[94:95], v[112:113], s[38:39], v[94:95]
	;; [unrolled: 1-line block ×3, first 2 shown]
	v_add_f64 v[118:119], v[40:41], -v[52:53]
	v_mul_f64 v[120:121], v[80:81], s[16:17]
	v_add_f64 v[122:123], v[122:123], v[78:79]
	v_add_f64 v[0:1], v[124:125], v[0:1]
	;; [unrolled: 1-line block ×4, first 2 shown]
	v_mul_f64 v[126:127], v[80:81], s[20:21]
	v_fma_f64 v[134:135], v[116:117], s[52:53], v[128:129]
	v_fma_f64 v[128:129], v[116:117], s[24:25], v[128:129]
	;; [unrolled: 1-line block ×4, first 2 shown]
	v_add_f64 v[130:131], v[130:131], v[122:123]
	v_add_f64 v[0:1], v[94:95], v[0:1]
	;; [unrolled: 1-line block ×3, first 2 shown]
	v_add_f64 v[122:123], v[32:33], -v[24:25]
	v_mul_f64 v[94:95], v[78:79], s[14:15]
	v_mul_f64 v[124:125], v[78:79], s[20:21]
	v_fma_f64 v[132:133], v[118:119], s[54:55], v[126:127]
	v_fma_f64 v[126:127], v[118:119], s[34:35], v[126:127]
	v_add_f64 v[130:131], v[134:135], v[130:131]
	v_add_f64 v[0:1], v[128:129], v[0:1]
	v_add_f64 v[2:3], v[136:137], v[2:3]
	v_fma_f64 v[128:129], v[122:123], s[44:45], v[94:95]
	v_fma_f64 v[94:95], v[122:123], s[36:37], v[94:95]
	;; [unrolled: 1-line block ×3, first 2 shown]
	v_add_f64 v[130:131], v[132:133], v[130:131]
	v_add_f64 v[126:127], v[126:127], v[0:1]
	;; [unrolled: 1-line block ×6, first 2 shown]
	s_and_saveexec_b32 s1, s0
	s_cbranch_execz .LBB0_13
; %bb.12:
	v_add_f64 v[126:127], v[70:71], v[6:7]
	v_mul_f64 v[128:129], v[122:123], s[34:35]
	v_mul_f64 v[130:131], v[76:77], s[30:31]
	;; [unrolled: 1-line block ×21, first 2 shown]
	v_add_f64 v[126:127], v[66:67], v[126:127]
	v_add_f64 v[124:125], v[124:125], -v[128:129]
	v_add_f64 v[96:97], v[96:97], -v[130:131]
	;; [unrolled: 1-line block ×3, first 2 shown]
	v_fma_f64 v[128:129], v[4:5], s[18:19], v[134:135]
	v_add_f64 v[114:115], v[114:115], -v[136:137]
	v_fma_f64 v[130:131], v[4:5], s[18:19], -v[134:135]
	v_add_f64 v[106:107], v[106:107], -v[144:145]
	v_add_f64 v[98:99], v[98:99], -v[138:139]
	v_fma_f64 v[132:133], v[74:75], s[20:21], v[146:147]
	v_fma_f64 v[134:135], v[4:5], s[20:21], v[148:149]
	v_fma_f64 v[136:137], v[74:75], s[20:21], -v[146:147]
	v_fma_f64 v[138:139], v[4:5], s[20:21], -v[148:149]
	v_fma_f64 v[144:145], v[4:5], s[14:15], v[152:153]
	v_fma_f64 v[146:147], v[4:5], s[14:15], -v[152:153]
	v_fma_f64 v[152:153], v[4:5], s[12:13], v[156:157]
	;; [unrolled: 2-line block ×3, first 2 shown]
	v_fma_f64 v[160:161], v[4:5], s[16:17], -v[160:161]
	v_fma_f64 v[250:251], v[4:5], s[10:11], -v[76:77]
	v_fma_f64 v[4:5], v[4:5], s[10:11], v[76:77]
	v_mul_f64 v[166:167], v[104:105], s[26:27]
	v_add_f64 v[126:127], v[62:63], v[126:127]
	v_mul_f64 v[170:171], v[104:105], s[46:47]
	v_mul_f64 v[172:173], v[104:105], s[38:39]
	v_add_f64 v[110:111], v[110:111], -v[142:143]
	v_add_f64 v[100:101], v[100:101], -v[140:141]
	v_fma_f64 v[140:141], v[74:75], s[6:7], v[150:151]
	v_fma_f64 v[142:143], v[74:75], s[6:7], -v[150:151]
	v_fma_f64 v[148:149], v[74:75], s[4:5], v[154:155]
	v_fma_f64 v[150:151], v[74:75], s[4:5], -v[154:155]
	;; [unrolled: 2-line block ×3, first 2 shown]
	v_fma_f64 v[226:227], v[74:75], s[14:15], v[162:163]
	v_add_f64 v[96:97], v[96:97], v[6:7]
	v_fma_f64 v[162:163], v[74:75], s[14:15], -v[162:163]
	v_add_f64 v[128:129], v[128:129], v[6:7]
	v_fma_f64 v[252:253], v[74:75], s[16:17], v[102:103]
	v_fma_f64 v[74:75], v[74:75], s[16:17], -v[102:103]
	v_add_f64 v[102:103], v[130:131], v[6:7]
	v_add_f64 v[134:135], v[134:135], v[6:7]
	;; [unrolled: 1-line block ×6, first 2 shown]
	v_mul_f64 v[168:169], v[104:105], s[54:55]
	v_add_f64 v[146:147], v[146:147], v[6:7]
	v_add_f64 v[144:145], v[144:145], v[6:7]
	;; [unrolled: 1-line block ×4, first 2 shown]
	v_mul_f64 v[104:105], v[104:105], s[52:53]
	v_add_f64 v[250:251], v[250:251], v[6:7]
	v_add_f64 v[4:5], v[4:5], v[6:7]
	v_mul_f64 v[174:175], v[108:109], s[30:31]
	v_mul_f64 v[176:177], v[108:109], s[52:53]
	;; [unrolled: 1-line block ×6, first 2 shown]
	v_fma_f64 v[228:229], v[88:89], s[10:11], v[164:165]
	v_fma_f64 v[164:165], v[88:89], s[10:11], -v[164:165]
	v_fma_f64 v[230:231], v[88:89], s[16:17], v[166:167]
	v_fma_f64 v[166:167], v[88:89], s[16:17], -v[166:167]
	;; [unrolled: 2-line block ×3, first 2 shown]
	v_fma_f64 v[236:237], v[88:89], s[18:19], v[172:173]
	v_add_f64 v[126:127], v[54:55], v[126:127]
	v_fma_f64 v[172:173], v[88:89], s[18:19], -v[172:173]
	v_add_f64 v[96:97], v[98:99], v[96:97]
	v_add_f64 v[128:129], v[132:133], v[128:129]
	;; [unrolled: 1-line block ×7, first 2 shown]
	v_fma_f64 v[232:233], v[88:89], s[20:21], v[168:169]
	v_fma_f64 v[168:169], v[88:89], s[20:21], -v[168:169]
	v_add_f64 v[146:147], v[150:151], v[146:147]
	v_add_f64 v[144:145], v[148:149], v[144:145]
	;; [unrolled: 1-line block ×4, first 2 shown]
	v_fma_f64 v[6:7], v[88:89], s[12:13], -v[104:105]
	v_add_f64 v[74:75], v[74:75], v[250:251]
	v_fma_f64 v[130:131], v[88:89], s[12:13], v[104:105]
	v_add_f64 v[4:5], v[252:253], v[4:5]
	v_mul_f64 v[184:185], v[112:113], s[36:37]
	v_mul_f64 v[186:187], v[112:113], s[22:23]
	;; [unrolled: 1-line block ×3, first 2 shown]
	v_add_f64 v[126:127], v[42:43], v[126:127]
	v_mul_f64 v[190:191], v[112:113], s[26:27]
	v_mul_f64 v[206:207], v[112:113], s[48:49]
	;; [unrolled: 1-line block ×3, first 2 shown]
	v_fma_f64 v[238:239], v[86:87], s[6:7], v[174:175]
	v_fma_f64 v[174:175], v[86:87], s[6:7], -v[174:175]
	v_fma_f64 v[240:241], v[86:87], s[12:13], v[176:177]
	v_fma_f64 v[176:177], v[86:87], s[12:13], -v[176:177]
	;; [unrolled: 2-line block ×6, first 2 shown]
	v_add_f64 v[96:97], v[100:101], v[96:97]
	v_add_f64 v[100:101], v[228:229], v[128:129]
	;; [unrolled: 1-line block ×14, first 2 shown]
	v_mul_f64 v[192:193], v[116:117], s[50:51]
	v_mul_f64 v[194:195], v[116:117], s[36:37]
	;; [unrolled: 1-line block ×4, first 2 shown]
	v_fma_f64 v[248:249], v[84:85], s[14:15], v[184:185]
	v_fma_f64 v[76:77], v[84:85], s[14:15], -v[184:185]
	v_fma_f64 v[184:185], v[84:85], s[4:5], v[186:187]
	v_fma_f64 v[186:187], v[84:85], s[4:5], -v[186:187]
	;; [unrolled: 2-line block ×4, first 2 shown]
	v_fma_f64 v[164:165], v[84:85], s[6:7], -v[206:207]
	v_fma_f64 v[166:167], v[84:85], s[6:7], v[206:207]
	v_add_f64 v[126:127], v[30:31], v[126:127]
	v_fma_f64 v[168:169], v[84:85], s[20:21], v[112:113]
	v_fma_f64 v[84:85], v[84:85], s[20:21], -v[112:113]
	v_add_f64 v[96:97], v[106:107], v[96:97]
	v_add_f64 v[100:101], v[238:239], v[100:101]
	;; [unrolled: 1-line block ×7, first 2 shown]
	v_mul_f64 v[196:197], v[116:117], s[30:31]
	v_add_f64 v[134:135], v[178:179], v[140:141]
	v_add_f64 v[138:139], v[242:243], v[142:143]
	;; [unrolled: 1-line block ×4, first 2 shown]
	v_mul_f64 v[116:117], v[116:117], s[38:39]
	v_add_f64 v[6:7], v[86:87], v[6:7]
	v_add_f64 v[4:5], v[182:183], v[4:5]
	v_mul_f64 v[200:201], v[118:119], s[22:23]
	v_mul_f64 v[202:203], v[118:119], s[28:29]
	;; [unrolled: 1-line block ×4, first 2 shown]
	v_add_f64 v[126:127], v[22:23], v[126:127]
	v_fma_f64 v[132:133], v[82:83], s[16:17], v[192:193]
	v_fma_f64 v[190:191], v[82:83], s[16:17], -v[192:193]
	v_fma_f64 v[136:137], v[82:83], s[14:15], v[194:195]
	v_fma_f64 v[152:153], v[82:83], s[14:15], -v[194:195]
	v_fma_f64 v[158:159], v[82:83], s[10:11], -v[198:199]
	;; [unrolled: 1-line block ×3, first 2 shown]
	v_add_f64 v[96:97], v[110:111], v[96:97]
	v_add_f64 v[100:101], v[248:249], v[100:101]
	;; [unrolled: 1-line block ×7, first 2 shown]
	v_mul_f64 v[204:205], v[118:119], s[42:43]
	v_fma_f64 v[156:157], v[82:83], s[6:7], -v[196:197]
	v_add_f64 v[104:105], v[104:105], v[134:135]
	v_fma_f64 v[154:155], v[82:83], s[6:7], v[196:197]
	v_add_f64 v[88:89], v[88:89], v[138:139]
	v_fma_f64 v[86:87], v[82:83], s[10:11], v[198:199]
	v_fma_f64 v[162:163], v[82:83], s[20:21], v[210:211]
	v_add_f64 v[98:99], v[98:99], v[140:141]
	v_add_f64 v[126:127], v[50:51], v[126:127]
	;; [unrolled: 1-line block ×3, first 2 shown]
	v_mul_f64 v[118:119], v[118:119], s[30:31]
	v_fma_f64 v[172:173], v[82:83], s[18:19], v[116:117]
	v_fma_f64 v[82:83], v[82:83], s[18:19], -v[116:117]
	v_add_f64 v[6:7], v[84:85], v[6:7]
	v_add_f64 v[4:5], v[168:169], v[4:5]
	v_mul_f64 v[214:215], v[122:123], s[24:25]
	v_mul_f64 v[216:217], v[122:123], s[38:39]
	;; [unrolled: 1-line block ×4, first 2 shown]
	v_fma_f64 v[160:161], v[80:81], s[4:5], v[200:201]
	v_fma_f64 v[130:131], v[80:81], s[10:11], v[202:203]
	v_fma_f64 v[148:149], v[80:81], s[10:11], -v[202:203]
	v_fma_f64 v[144:145], v[80:81], s[14:15], -v[208:209]
	;; [unrolled: 1-line block ×3, first 2 shown]
	v_add_f64 v[96:97], v[114:115], v[96:97]
	v_add_f64 v[100:101], v[132:133], v[100:101]
	;; [unrolled: 1-line block ×7, first 2 shown]
	v_fma_f64 v[126:127], v[80:81], s[4:5], -v[200:201]
	v_add_f64 v[110:111], v[146:147], v[110:111]
	v_mul_f64 v[218:219], v[122:123], s[26:27]
	v_fma_f64 v[150:151], v[80:81], s[18:19], -v[204:205]
	v_add_f64 v[104:105], v[156:157], v[104:105]
	v_fma_f64 v[134:135], v[80:81], s[18:19], v[204:205]
	v_add_f64 v[88:89], v[154:155], v[88:89]
	v_fma_f64 v[138:139], v[80:81], s[14:15], v[208:209]
	v_fma_f64 v[140:141], v[80:81], s[12:13], v[212:213]
	v_add_f64 v[86:87], v[86:87], v[98:99]
	v_add_f64 v[98:99], v[162:163], v[112:113]
	v_mul_f64 v[122:123], v[122:123], s[22:23]
	v_fma_f64 v[142:143], v[80:81], s[6:7], v[118:119]
	v_fma_f64 v[80:81], v[80:81], s[6:7], -v[118:119]
	v_add_f64 v[6:7], v[82:83], v[6:7]
	v_add_f64 v[4:5], v[172:173], v[4:5]
	v_fma_f64 v[174:175], v[78:79], s[12:13], v[214:215]
	v_fma_f64 v[84:85], v[78:79], s[12:13], -v[214:215]
	v_fma_f64 v[116:117], v[78:79], s[18:19], v[216:217]
	v_fma_f64 v[128:129], v[78:79], s[18:19], -v[216:217]
	v_fma_f64 v[118:119], v[78:79], s[6:7], -v[220:221]
	v_add_f64 v[74:75], v[34:35], v[74:75]
	v_fma_f64 v[136:137], v[78:79], s[10:11], -v[222:223]
	v_add_f64 v[96:97], v[120:121], v[96:97]
	v_add_f64 v[100:101], v[160:161], v[100:101]
	;; [unrolled: 1-line block ×7, first 2 shown]
	v_fma_f64 v[112:113], v[78:79], s[16:17], -v[218:219]
	v_add_f64 v[104:105], v[150:151], v[104:105]
	v_fma_f64 v[82:83], v[78:79], s[16:17], v[218:219]
	v_add_f64 v[88:89], v[134:135], v[88:89]
	v_fma_f64 v[114:115], v[78:79], s[6:7], v[220:221]
	v_fma_f64 v[132:133], v[78:79], s[10:11], v[222:223]
	v_add_f64 v[86:87], v[138:139], v[86:87]
	v_add_f64 v[98:99], v[140:141], v[98:99]
	v_fma_f64 v[146:147], v[78:79], s[4:5], v[122:123]
	v_fma_f64 v[78:79], v[78:79], s[4:5], -v[122:123]
	v_add_f64 v[6:7], v[80:81], v[6:7]
	v_add_f64 v[4:5], v[142:143], v[4:5]
	;; [unrolled: 1-line block ×16, first 2 shown]
	v_mad_u32_u24 v78, 0x88, v90, 0
	v_add_f64 v[74:75], v[18:19], v[74:75]
	v_add_f64 v[74:75], v[14:15], v[74:75]
	;; [unrolled: 1-line block ×3, first 2 shown]
	ds_write2_b64 v78, v[0:1], v[2:3] offset0:8 offset1:9
	ds_write2_b64 v78, v[106:107], v[102:103] offset0:2 offset1:3
	;; [unrolled: 1-line block ×7, first 2 shown]
	ds_write2_b64 v78, v[74:75], v[6:7] offset1:1
	ds_write_b64 v78, v[4:5] offset:128
.LBB0_13:
	s_or_b32 exec_lo, exec_lo, s1
	v_add_f64 v[110:111], v[70:71], -v[10:11]
	v_add_f64 v[102:103], v[66:67], -v[14:15]
	v_add_f64 v[70:71], v[72:73], v[12:13]
	v_add_f64 v[106:107], v[62:63], -v[18:19]
	v_add_f64 v[66:67], v[16:17], v[68:69]
	v_add_f64 v[62:63], v[64:65], v[20:21]
	v_add_f64 v[108:109], v[58:59], -v[26:27]
	v_add_f64 v[58:59], v[60:61], v[28:29]
	v_add_f64 v[54:55], v[54:55], -v[34:35]
	v_add_f64 v[46:47], v[42:43], -v[46:47]
	;; [unrolled: 1-line block ×4, first 2 shown]
	v_lshl_add_u32 v91, v90, 3, 0
	s_waitcnt lgkmcnt(0)
	s_barrier
	buffer_gl0_inv
	v_add_nc_u32_e32 v128, 0xa00, v91
	v_add_nc_u32_e32 v129, 0x1600, v91
	;; [unrolled: 1-line block ×3, first 2 shown]
	v_mul_f64 v[98:99], v[110:111], s[30:31]
	v_mul_f64 v[4:5], v[110:111], s[22:23]
	v_mul_f64 v[100:101], v[102:103], s[24:25]
	v_mul_f64 v[6:7], v[102:103], s[40:41]
	v_mul_f64 v[104:105], v[106:107], s[44:45]
	v_mul_f64 v[18:19], v[106:107], s[30:31]
	v_mul_f64 v[34:35], v[108:109], s[42:43]
	v_mul_f64 v[76:77], v[108:109], s[26:27]
	v_mul_f64 v[42:43], v[54:55], s[28:29]
	v_mul_f64 v[38:39], v[46:47], s[22:23]
	v_mul_f64 v[22:23], v[50:51], s[26:27]
	v_mul_f64 v[112:113], v[30:31], s[34:35]
	v_fma_f64 v[10:11], v[70:71], s[6:7], -v[98:99]
	v_fma_f64 v[14:15], v[70:71], s[4:5], v[4:5]
	v_fma_f64 v[4:5], v[70:71], s[4:5], -v[4:5]
	v_fma_f64 v[26:27], v[66:67], s[12:13], -v[100:101]
	v_fma_f64 v[74:75], v[66:67], s[10:11], v[6:7]
	v_fma_f64 v[6:7], v[66:67], s[10:11], -v[6:7]
	;; [unrolled: 3-line block ×3, first 2 shown]
	v_fma_f64 v[82:83], v[58:59], s[16:17], v[76:77]
	v_fma_f64 v[76:77], v[58:59], s[16:17], -v[76:77]
	v_add_f64 v[10:11], v[10:11], v[8:9]
	v_add_f64 v[14:15], v[14:15], v[8:9]
	;; [unrolled: 1-line block ×7, first 2 shown]
	v_mul_f64 v[6:7], v[54:55], s[38:39]
	v_fma_f64 v[74:75], v[58:59], s[18:19], -v[34:35]
	v_add_f64 v[10:11], v[78:79], v[10:11]
	v_add_f64 v[14:15], v[80:81], v[14:15]
	v_add_f64 v[4:5], v[18:19], v[4:5]
	v_add_f64 v[18:19], v[44:45], v[48:49]
	v_mul_f64 v[78:79], v[46:47], s[24:25]
	v_fma_f64 v[80:81], v[26:27], s[10:11], -v[42:43]
	v_fma_f64 v[84:85], v[26:27], s[18:19], v[6:7]
	v_fma_f64 v[6:7], v[26:27], s[18:19], -v[6:7]
	v_add_f64 v[10:11], v[74:75], v[10:11]
	v_add_f64 v[74:75], v[82:83], v[14:15]
	v_add_f64 v[4:5], v[76:77], v[4:5]
	v_add_f64 v[14:15], v[52:53], v[40:41]
	v_mul_f64 v[76:77], v[50:51], s[34:35]
	v_fma_f64 v[82:83], v[18:19], s[4:5], -v[38:39]
	v_fma_f64 v[86:87], v[18:19], s[12:13], v[78:79]
	;; [unrolled: 8-line block ×3, first 2 shown]
	v_fma_f64 v[76:77], v[14:15], s[20:21], -v[76:77]
	v_add_f64 v[80:81], v[82:83], v[80:81]
	v_add_f64 v[74:75], v[86:87], v[74:75]
	v_add_f64 v[4:5], v[78:79], v[4:5]
	v_fma_f64 v[82:83], v[10:11], s[20:21], -v[112:113]
	v_fma_f64 v[86:87], v[10:11], s[14:15], v[6:7]
	v_fma_f64 v[6:7], v[10:11], s[14:15], -v[6:7]
	v_add_f64 v[84:85], v[84:85], v[80:81]
	v_add_f64 v[74:75], v[88:89], v[74:75]
	;; [unrolled: 1-line block ×3, first 2 shown]
	ds_read2_b64 v[78:81], v91 offset1:187
	v_add_f64 v[96:97], v[82:83], v[84:85]
	v_add_f64 v[4:5], v[86:87], v[74:75]
	;; [unrolled: 1-line block ×3, first 2 shown]
	ds_read2_b64 v[86:89], v128 offset0:54 offset1:241
	ds_read2_b64 v[74:77], v129 offset0:44 offset1:231
	;; [unrolled: 1-line block ×3, first 2 shown]
	s_waitcnt lgkmcnt(0)
	s_barrier
	buffer_gl0_inv
	s_and_saveexec_b32 s33, s0
	s_cbranch_execz .LBB0_15
; %bb.14:
	v_add_f64 v[131:132], v[72:73], v[8:9]
	s_mov_b32 s22, 0x5d8e7cdc
	s_mov_b32 s24, 0x2a9d6da3
	v_mul_f64 v[126:127], v[10:11], s[20:21]
	s_mov_b32 s23, 0xbfd71e95
	s_mov_b32 s25, 0xbfe58eea
	;; [unrolled: 1-line block ×9, first 2 shown]
	v_mul_f64 v[114:115], v[70:71], s[6:7]
	v_mul_f64 v[116:117], v[66:67], s[12:13]
	;; [unrolled: 1-line block ×3, first 2 shown]
	s_mov_b32 s29, 0xbfe9895b
	v_mul_f64 v[133:134], v[110:111], s[20:21]
	v_mul_f64 v[118:119], v[58:59], s[18:19]
	;; [unrolled: 1-line block ×5, first 2 shown]
	v_add_f64 v[68:69], v[68:69], v[131:132]
	v_mul_f64 v[131:132], v[110:111], s[24:25]
	v_mul_f64 v[135:136], v[110:111], s[26:27]
	;; [unrolled: 1-line block ×3, first 2 shown]
	s_mov_b32 s0, 0x370991
	s_mov_b32 s4, 0x75d4884
	;; [unrolled: 1-line block ×18, first 2 shown]
	v_add_f64 v[64:65], v[64:65], v[68:69]
	v_mul_f64 v[68:69], v[110:111], s[22:23]
	v_mul_f64 v[110:111], v[110:111], s[28:29]
	;; [unrolled: 1-line block ×7, first 2 shown]
	v_add_f64 v[98:99], v[114:115], v[98:99]
	v_add_f64 v[100:101], v[116:117], v[100:101]
	v_fma_f64 v[114:115], v[70:71], s[4:5], -v[131:132]
	v_fma_f64 v[116:117], v[70:71], s[6:7], v[133:134]
	v_add_f64 v[34:35], v[118:119], v[34:35]
	v_add_f64 v[42:43], v[120:121], v[42:43]
	;; [unrolled: 1-line block ×4, first 2 shown]
	v_fma_f64 v[118:119], v[70:71], s[6:7], -v[133:134]
	v_fma_f64 v[120:121], v[70:71], s[12:13], v[135:136]
	v_fma_f64 v[122:123], v[70:71], s[12:13], -v[135:136]
	v_fma_f64 v[124:125], v[70:71], s[18:19], v[137:138]
	s_mov_b32 s14, 0x7faef3
	s_mov_b32 s16, 0x910ea3b9
	v_add_f64 v[60:61], v[60:61], v[64:65]
	s_mov_b32 s15, 0xbfef7484
	s_mov_b32 s17, 0xbfeb34fa
	;; [unrolled: 1-line block ×6, first 2 shown]
	v_mul_f64 v[149:150], v[106:107], s[20:21]
	v_mul_f64 v[151:152], v[106:107], s[28:29]
	;; [unrolled: 1-line block ×3, first 2 shown]
	v_fma_f64 v[133:134], v[66:67], s[4:5], -v[139:140]
	v_fma_f64 v[135:136], v[66:67], s[12:13], v[141:142]
	v_mul_f64 v[64:65], v[106:107], s[22:23]
	v_mul_f64 v[183:184], v[106:107], s[36:37]
	s_mov_b32 s45, 0x3fd71e95
	s_mov_b32 s44, s22
	;; [unrolled: 1-line block ×3, first 2 shown]
	v_mul_f64 v[153:154], v[108:109], s[26:27]
	v_mul_f64 v[155:156], v[108:109], s[34:35]
	s_mov_b32 s46, s38
	v_mul_f64 v[185:186], v[108:109], s[36:37]
	v_mul_f64 v[157:158], v[108:109], s[20:21]
	v_add_f64 v[56:57], v[56:57], v[60:61]
	v_mul_f64 v[60:61], v[102:103], s[36:37]
	v_mul_f64 v[102:103], v[106:107], s[42:43]
	v_mul_f64 v[106:107], v[106:107], s[40:41]
	v_mul_f64 v[187:188], v[108:109], s[44:45]
	v_mul_f64 v[108:109], v[108:109], s[46:47]
	s_mov_b32 s49, 0x3fefdd0d
	v_fma_f64 v[205:206], v[62:63], s[6:7], v[149:150]
	v_fma_f64 v[207:208], v[62:63], s[10:11], v[151:152]
	v_fma_f64 v[151:152], v[62:63], s[10:11], -v[151:152]
	v_fma_f64 v[223:224], v[18:19], s[10:11], v[167:168]
	v_fma_f64 v[149:150], v[62:63], s[6:7], -v[149:150]
	;; [unrolled: 2-line block ×3, first 2 shown]
	s_mov_b32 s48, s26
	v_mul_f64 v[159:160], v[54:55], s[30:31]
	v_mul_f64 v[161:162], v[54:55], s[38:39]
	;; [unrolled: 1-line block ×6, first 2 shown]
	v_fma_f64 v[211:212], v[58:59], s[12:13], v[153:154]
	v_add_f64 v[44:45], v[44:45], v[56:57]
	v_add_f64 v[56:57], v[72:73], v[104:105]
	;; [unrolled: 1-line block ×3, first 2 shown]
	v_fma_f64 v[104:105], v[70:71], s[0:1], v[68:69]
	v_fma_f64 v[112:113], v[70:71], s[4:5], v[131:132]
	v_fma_f64 v[126:127], v[70:71], s[18:19], -v[137:138]
	v_fma_f64 v[131:132], v[70:71], s[10:11], v[110:111]
	v_fma_f64 v[68:69], v[70:71], s[0:1], -v[68:69]
	v_fma_f64 v[70:71], v[70:71], s[10:11], -v[110:111]
	v_fma_f64 v[110:111], v[66:67], s[4:5], v[139:140]
	v_fma_f64 v[137:138], v[66:67], s[10:11], v[143:144]
	v_fma_f64 v[139:140], v[66:67], s[10:11], -v[143:144]
	v_fma_f64 v[143:144], v[66:67], s[14:15], -v[145:146]
	v_fma_f64 v[225:226], v[66:67], s[18:19], v[60:61]
	v_fma_f64 v[60:61], v[66:67], s[18:19], -v[60:61]
	v_fma_f64 v[227:228], v[62:63], s[4:5], v[106:107]
	v_fma_f64 v[213:214], v[58:59], s[14:15], v[155:156]
	v_fma_f64 v[155:156], v[58:59], s[14:15], -v[155:156]
	v_fma_f64 v[215:216], v[58:59], s[6:7], v[157:158]
	v_fma_f64 v[153:154], v[58:59], s[12:13], -v[153:154]
	v_fma_f64 v[157:158], v[58:59], s[6:7], -v[157:158]
	v_mul_f64 v[169:170], v[46:47], s[22:23]
	v_add_f64 v[40:41], v[40:41], v[44:45]
	v_fma_f64 v[44:45], v[66:67], s[12:13], -v[141:142]
	v_fma_f64 v[141:142], v[66:67], s[14:15], v[145:146]
	v_fma_f64 v[145:146], v[66:67], s[16:17], v[147:148]
	v_fma_f64 v[147:148], v[66:67], s[16:17], -v[147:148]
	v_add_f64 v[66:67], v[98:99], v[8:9]
	v_add_f64 v[98:99], v[104:105], v[8:9]
	;; [unrolled: 1-line block ×13, first 2 shown]
	v_fma_f64 v[68:69], v[62:63], s[14:15], -v[102:103]
	v_mul_f64 v[171:172], v[46:47], s[24:25]
	v_mul_f64 v[191:192], v[46:47], s[36:37]
	;; [unrolled: 1-line block ×3, first 2 shown]
	v_add_f64 v[32:33], v[32:33], v[40:41]
	v_mul_f64 v[46:47], v[46:47], s[48:49]
	v_fma_f64 v[217:218], v[26:27], s[18:19], v[159:160]
	v_fma_f64 v[159:160], v[26:27], s[18:19], -v[159:160]
	v_fma_f64 v[40:41], v[26:27], s[16:17], v[161:162]
	v_add_f64 v[66:67], v[66:67], v[100:101]
	v_add_f64 v[98:99], v[98:99], v[110:111]
	;; [unrolled: 1-line block ×5, first 2 shown]
	v_fma_f64 v[161:162], v[26:27], s[16:17], -v[161:162]
	v_add_f64 v[110:111], v[118:119], v[141:142]
	v_add_f64 v[112:113], v[120:121], v[143:144]
	;; [unrolled: 1-line block ×3, first 2 shown]
	v_fma_f64 v[120:121], v[58:59], s[18:19], v[185:186]
	v_add_f64 v[118:119], v[126:127], v[225:226]
	v_add_f64 v[60:61], v[70:71], v[60:61]
	;; [unrolled: 1-line block ×3, first 2 shown]
	v_fma_f64 v[122:123], v[58:59], s[18:19], -v[185:186]
	v_fma_f64 v[126:127], v[58:59], s[0:1], -v[187:188]
	v_fma_f64 v[133:134], v[58:59], s[16:17], v[108:109]
	v_fma_f64 v[219:220], v[26:27], s[6:7], v[163:164]
	v_add_f64 v[24:25], v[24:25], v[32:33]
	v_fma_f64 v[32:33], v[18:19], s[10:11], -v[167:168]
	v_fma_f64 v[167:168], v[62:63], s[14:15], v[102:103]
	v_fma_f64 v[102:103], v[62:63], s[18:19], v[183:184]
	v_fma_f64 v[183:184], v[62:63], s[18:19], -v[183:184]
	v_fma_f64 v[62:63], v[62:63], s[4:5], -v[106:107]
	v_add_f64 v[106:107], v[116:117], v[139:140]
	v_add_f64 v[116:117], v[124:125], v[147:148]
	;; [unrolled: 1-line block ×6, first 2 shown]
	v_fma_f64 v[124:125], v[58:59], s[0:1], v[187:188]
	v_fma_f64 v[58:59], v[58:59], s[16:17], -v[108:109]
	v_fma_f64 v[163:164], v[26:27], s[6:7], -v[163:164]
	v_add_f64 v[108:109], v[209:210], v[118:119]
	v_add_f64 v[60:61], v[64:65], v[60:61]
	;; [unrolled: 1-line block ×3, first 2 shown]
	v_fma_f64 v[221:222], v[26:27], s[14:15], v[165:166]
	v_fma_f64 v[165:166], v[26:27], s[14:15], -v[165:166]
	v_fma_f64 v[118:119], v[26:27], s[12:13], v[54:55]
	s_mov_b32 s21, 0x3feca52d
	v_add_f64 v[24:25], v[52:53], v[24:25]
	s_mov_b32 s51, 0x3fe9895b
	v_add_f64 v[100:101], v[167:168], v[104:105]
	v_add_f64 v[102:103], v[102:103], v[110:111]
	;; [unrolled: 1-line block ×3, first 2 shown]
	s_mov_b32 s50, s28
	v_add_f64 v[68:69], v[68:69], v[106:107]
	v_add_f64 v[106:107], v[227:228], v[114:115]
	;; [unrolled: 1-line block ×3, first 2 shown]
	v_fma_f64 v[114:115], v[26:27], s[4:5], v[189:190]
	v_fma_f64 v[116:117], v[26:27], s[4:5], -v[189:190]
	v_fma_f64 v[26:27], v[26:27], s[12:13], -v[54:55]
	v_add_f64 v[34:35], v[34:35], v[56:57]
	v_add_f64 v[54:55], v[211:212], v[66:67]
	;; [unrolled: 1-line block ×6, first 2 shown]
	v_mul_f64 v[173:174], v[50:51], s[26:27]
	v_mul_f64 v[195:196], v[50:51], s[46:47]
	;; [unrolled: 1-line block ×3, first 2 shown]
	v_fma_f64 v[131:132], v[18:19], s[0:1], v[169:170]
	v_add_f64 v[24:25], v[48:49], v[24:25]
	v_fma_f64 v[52:53], v[18:19], s[0:1], -v[169:170]
	v_add_f64 v[66:67], v[120:121], v[100:101]
	v_add_f64 v[98:99], v[124:125], v[102:103]
	;; [unrolled: 1-line block ×7, first 2 shown]
	v_fma_f64 v[70:71], v[18:19], s[4:5], v[171:172]
	v_fma_f64 v[48:49], v[18:19], s[4:5], -v[171:172]
	v_fma_f64 v[106:107], v[18:19], s[18:19], v[191:192]
	v_fma_f64 v[108:109], v[18:19], s[18:19], -v[191:192]
	v_fma_f64 v[120:121], v[18:19], s[16:17], v[193:194]
	v_fma_f64 v[122:123], v[18:19], s[16:17], -v[193:194]
	v_fma_f64 v[124:125], v[18:19], s[12:13], v[46:47]
	v_fma_f64 v[18:19], v[18:19], s[12:13], -v[46:47]
	v_add_f64 v[34:35], v[42:43], v[34:35]
	v_add_f64 v[42:43], v[217:218], v[54:55]
	;; [unrolled: 1-line block ×4, first 2 shown]
	v_mul_f64 v[175:176], v[50:51], s[22:23]
	v_add_f64 v[24:25], v[36:37], v[24:25]
	v_mul_f64 v[177:178], v[50:51], s[34:35]
	v_add_f64 v[46:47], v[114:115], v[66:67]
	;; [unrolled: 2-line block ×3, first 2 shown]
	v_add_f64 v[98:99], v[118:119], v[104:105]
	v_add_f64 v[54:55], v[116:117], v[68:69]
	;; [unrolled: 1-line block ×7, first 2 shown]
	v_mul_f64 v[199:200], v[30:31], s[44:45]
	v_mul_f64 v[201:202], v[30:31], s[46:47]
	v_fma_f64 v[64:65], v[14:15], s[12:13], v[173:174]
	v_fma_f64 v[102:103], v[14:15], s[16:17], v[195:196]
	;; [unrolled: 1-line block ×3, first 2 shown]
	v_fma_f64 v[114:115], v[14:15], s[6:7], -v[197:198]
	v_add_f64 v[34:35], v[38:39], v[34:35]
	v_add_f64 v[38:39], v[223:224], v[42:43]
	;; [unrolled: 1-line block ×5, first 2 shown]
	v_mul_f64 v[181:182], v[30:31], s[28:29]
	v_add_f64 v[44:45], v[131:132], v[46:47]
	v_mul_f64 v[203:204], v[30:31], s[40:41]
	v_fma_f64 v[110:111], v[14:15], s[12:13], -v[173:174]
	v_fma_f64 v[112:113], v[14:15], s[0:1], v[175:176]
	v_fma_f64 v[116:117], v[14:15], s[10:11], v[50:51]
	v_add_f64 v[46:47], v[52:53], v[54:55]
	v_add_f64 v[52:53], v[120:121], v[56:57]
	;; [unrolled: 1-line block ×3, first 2 shown]
	v_mul_f64 v[179:180], v[30:31], s[34:35]
	v_mul_f64 v[30:31], v[30:31], s[20:21]
	v_fma_f64 v[36:37], v[14:15], s[0:1], -v[175:176]
	v_fma_f64 v[60:61], v[14:15], s[14:15], v[177:178]
	v_add_f64 v[18:19], v[18:19], v[62:63]
	v_add_f64 v[62:63], v[70:71], v[98:99]
	v_fma_f64 v[28:29], v[14:15], s[14:15], -v[177:178]
	v_add_f64 v[26:27], v[48:49], v[26:27]
	v_fma_f64 v[50:51], v[14:15], s[10:11], -v[50:51]
	;; [unrolled: 2-line block ×3, first 2 shown]
	v_add_f64 v[8:9], v[32:33], v[8:9]
	v_add_f64 v[20:21], v[20:21], v[24:25]
	v_fma_f64 v[24:25], v[10:11], s[0:1], v[199:200]
	v_fma_f64 v[32:33], v[10:11], s[16:17], v[201:202]
	v_add_f64 v[22:23], v[22:23], v[34:35]
	v_add_f64 v[34:35], v[102:103], v[38:39]
	v_add_f64 v[38:39], v[104:105], v[40:41]
	v_add_f64 v[40:41], v[114:115], v[42:43]
	v_add_f64 v[42:43], v[64:65], v[44:45]
	v_fma_f64 v[100:101], v[10:11], s[10:11], v[181:182]
	v_fma_f64 v[66:67], v[10:11], s[4:5], v[203:204]
	v_add_f64 v[44:45], v[110:111], v[46:47]
	v_add_f64 v[46:47], v[116:117], v[52:53]
	;; [unrolled: 1-line block ×3, first 2 shown]
	v_fma_f64 v[70:71], v[10:11], s[6:7], v[30:31]
	v_add_f64 v[18:19], v[36:37], v[18:19]
	v_add_f64 v[36:37], v[60:61], v[62:63]
	v_fma_f64 v[30:31], v[10:11], s[6:7], -v[30:31]
	v_add_f64 v[26:27], v[28:29], v[26:27]
	v_fma_f64 v[58:59], v[10:11], s[14:15], v[179:180]
	v_fma_f64 v[48:49], v[10:11], s[0:1], -v[199:200]
	v_fma_f64 v[68:69], v[10:11], s[4:5], -v[203:204]
	v_add_f64 v[50:51], v[50:51], v[54:55]
	v_add_f64 v[16:17], v[16:17], v[20:21]
	v_fma_f64 v[20:21], v[10:11], s[10:11], -v[181:182]
	v_fma_f64 v[28:29], v[10:11], s[16:17], -v[201:202]
	v_fma_f64 v[10:11], v[10:11], s[14:15], -v[179:180]
	v_add_f64 v[8:9], v[14:15], v[8:9]
	v_add_f64 v[24:25], v[24:25], v[38:39]
	;; [unrolled: 1-line block ×15, first 2 shown]
	v_lshl_add_u32 v10, v90, 7, v91
	ds_write2_b64 v10, v[4:5], v[6:7] offset0:8 offset1:9
	ds_write2_b64 v10, v[24:25], v[32:33] offset0:2 offset1:3
	;; [unrolled: 1-line block ×7, first 2 shown]
	ds_write2_b64 v10, v[12:13], v[22:23] offset1:1
	ds_write_b64 v10, v[8:9] offset:128
.LBB0_15:
	s_or_b32 exec_lo, exec_lo, s33
	v_and_b32_e32 v8, 0xff, v90
	v_mov_b32_e32 v9, 7
	s_waitcnt lgkmcnt(0)
	s_barrier
	buffer_gl0_inv
	v_mul_lo_u16 v8, 0xf1, v8
	s_mov_b32 s0, 0x667f3bcd
	s_mov_b32 s1, 0x3fe6a09e
	;; [unrolled: 1-line block ×4, first 2 shown]
	v_lshrrev_b16 v68, 12, v8
	v_mul_lo_u16 v8, v68, 17
	v_sub_nc_u16 v69, v90, v8
	v_mul_u32_u24_sdwa v8, v69, v9 dst_sel:DWORD dst_unused:UNUSED_PAD src0_sel:BYTE_0 src1_sel:DWORD
	v_lshlrev_b32_e32 v28, 4, v8
	s_clause 0x6
	global_load_dwordx4 v[8:11], v28, s[8:9]
	global_load_dwordx4 v[16:19], v28, s[8:9] offset:16
	global_load_dwordx4 v[20:23], v28, s[8:9] offset:32
	;; [unrolled: 1-line block ×6, first 2 shown]
	ds_read2_b64 v[28:31], v91 offset1:187
	ds_read2_b64 v[46:49], v128 offset0:54 offset1:241
	ds_read2_b64 v[32:35], v129 offset0:44 offset1:231
	;; [unrolled: 1-line block ×3, first 2 shown]
	s_waitcnt vmcnt(0) lgkmcnt(0)
	s_barrier
	buffer_gl0_inv
	v_mul_f64 v[36:37], v[30:31], v[10:11]
	v_mul_f64 v[54:55], v[46:47], v[18:19]
	v_mul_f64 v[18:19], v[86:87], v[18:19]
	v_mul_f64 v[56:57], v[48:49], v[22:23]
	v_mul_f64 v[22:23], v[88:89], v[22:23]
	v_mul_f64 v[58:59], v[32:33], v[14:15]
	v_mul_f64 v[60:61], v[50:51], v[26:27]
	v_mul_f64 v[62:63], v[34:35], v[40:41]
	v_mul_f64 v[26:27], v[82:83], v[26:27]
	v_mul_f64 v[64:65], v[52:53], v[44:45]
	v_mul_f64 v[44:45], v[84:85], v[44:45]
	v_mul_f64 v[10:11], v[80:81], v[10:11]
	v_mul_f64 v[40:41], v[76:77], v[40:41]
	v_fma_f64 v[66:67], v[80:81], v[8:9], -v[36:37]
	v_fma_f64 v[54:55], v[86:87], v[16:17], -v[54:55]
	v_fma_f64 v[36:37], v[46:47], v[16:17], v[18:19]
	v_fma_f64 v[16:17], v[88:89], v[20:21], -v[56:57]
	v_fma_f64 v[18:19], v[48:49], v[20:21], v[22:23]
	v_fma_f64 v[20:21], v[74:75], v[12:13], -v[58:59]
	v_fma_f64 v[22:23], v[82:83], v[24:25], -v[60:61]
	;; [unrolled: 1-line block ×3, first 2 shown]
	v_fma_f64 v[24:25], v[50:51], v[24:25], v[26:27]
	v_fma_f64 v[26:27], v[84:85], v[42:43], -v[64:65]
	v_fma_f64 v[42:43], v[52:53], v[42:43], v[44:45]
	v_fma_f64 v[8:9], v[30:31], v[8:9], v[10:11]
	;; [unrolled: 1-line block ×3, first 2 shown]
	v_mov_b32_e32 v60, 0x440
	v_add_f64 v[20:21], v[78:79], -v[20:21]
	v_add_f64 v[30:31], v[54:55], -v[22:23]
	v_add_f64 v[22:23], v[66:67], -v[46:47]
	v_add_f64 v[34:35], v[36:37], -v[24:25]
	v_add_f64 v[24:25], v[16:17], -v[26:27]
	v_add_f64 v[26:27], v[18:19], -v[42:43]
	v_add_f64 v[10:11], v[8:9], -v[10:11]
	v_fma_f64 v[44:45], v[78:79], 2.0, -v[20:21]
	v_fma_f64 v[38:39], v[54:55], 2.0, -v[30:31]
	;; [unrolled: 1-line block ×3, first 2 shown]
	v_add_f64 v[48:49], v[20:21], -v[34:35]
	v_fma_f64 v[16:17], v[16:17], 2.0, -v[24:25]
	v_add_f64 v[50:51], v[22:23], -v[26:27]
	v_fma_f64 v[40:41], v[8:9], 2.0, -v[10:11]
	v_fma_f64 v[8:9], v[18:19], 2.0, -v[26:27]
	v_add_f64 v[52:53], v[10:11], v[24:25]
	v_add_f64 v[18:19], v[44:45], -v[38:39]
	v_fma_f64 v[54:55], v[20:21], 2.0, -v[48:49]
	v_add_f64 v[38:39], v[46:47], -v[16:17]
	v_fma_f64 v[56:57], v[22:23], 2.0, -v[50:51]
	;; [unrolled: 2-line block ×3, first 2 shown]
	v_fma_f64 v[8:9], v[50:51], s[0:1], v[48:49]
	v_fma_f64 v[10:11], v[44:45], 2.0, -v[18:19]
	v_mul_f64 v[44:45], v[50:51], s[0:1]
	v_mul_f64 v[50:51], v[52:53], s[0:1]
	v_fma_f64 v[16:17], v[46:47], 2.0, -v[38:39]
	v_fma_f64 v[26:27], v[56:57], s[4:5], v[54:55]
	v_mul_f64 v[46:47], v[56:57], s[0:1]
	v_add_f64 v[20:21], v[18:19], -v[42:43]
	v_fma_f64 v[22:23], v[52:53], s[4:5], v[8:9]
	v_mov_b32_e32 v52, 3
	v_mul_u32_u24_sdwa v53, v68, v60 dst_sel:DWORD dst_unused:UNUSED_PAD src0_sel:WORD_0 src1_sel:DWORD
	v_lshlrev_b32_sdwa v52, v52, v69 dst_sel:DWORD dst_unused:UNUSED_PAD src0_sel:DWORD src1_sel:BYTE_0
	v_add3_u32 v52, 0, v53, v52
	v_add_f64 v[24:25], v[10:11], -v[16:17]
	v_fma_f64 v[26:27], v[58:59], s[4:5], v[26:27]
	v_fma_f64 v[16:17], v[18:19], 2.0, -v[20:21]
	v_fma_f64 v[18:19], v[48:49], 2.0, -v[22:23]
	v_mul_f64 v[48:49], v[58:59], s[0:1]
	v_cmp_gt_u32_e64 s0, 0x88, v90
	v_fma_f64 v[8:9], v[10:11], 2.0, -v[24:25]
	v_fma_f64 v[10:11], v[54:55], 2.0, -v[26:27]
	ds_write2_b64 v52, v[20:21], v[22:23] offset0:102 offset1:119
	ds_write2_b64 v52, v[16:17], v[18:19] offset0:34 offset1:51
	;; [unrolled: 1-line block ×3, first 2 shown]
	ds_write2_b64 v52, v[8:9], v[10:11] offset1:17
	s_waitcnt lgkmcnt(0)
	s_barrier
	buffer_gl0_inv
	s_and_saveexec_b32 s1, s0
	s_cbranch_execz .LBB0_17
; %bb.16:
	v_add_nc_u32_e32 v0, 0x800, v91
	v_add_nc_u32_e32 v1, 0x1000, v91
	;; [unrolled: 1-line block ×4, first 2 shown]
	ds_read2_b64 v[8:11], v91 offset1:136
	ds_read2_b64 v[16:19], v0 offset0:16 offset1:152
	ds_read2_b64 v[24:27], v1 offset0:32 offset1:168
	ds_read2_b64 v[20:23], v2 offset0:48 offset1:184
	ds_read2_b64 v[0:3], v3 offset0:64 offset1:200
	ds_read_b64 v[94:95], v91 offset:10880
.LBB0_17:
	s_or_b32 exec_lo, exec_lo, s1
	v_mul_f64 v[14:15], v[74:75], v[14:15]
	s_waitcnt lgkmcnt(0)
	s_barrier
	buffer_gl0_inv
	v_fma_f64 v[12:13], v[32:33], v[12:13], v[14:15]
	v_fma_f64 v[14:15], v[36:37], 2.0, -v[34:35]
	v_add_f64 v[12:13], v[28:29], -v[12:13]
	v_fma_f64 v[28:29], v[28:29], 2.0, -v[12:13]
	v_add_f64 v[30:31], v[12:13], v[30:31]
	v_add_f64 v[14:15], v[28:29], -v[14:15]
	v_fma_f64 v[53:54], v[12:13], 2.0, -v[30:31]
	v_fma_f64 v[12:13], v[40:41], 2.0, -v[42:43]
	v_add_f64 v[34:35], v[30:31], v[50:51]
	v_fma_f64 v[40:41], v[28:29], 2.0, -v[14:15]
	v_add_f64 v[28:29], v[53:54], -v[48:49]
	v_add_f64 v[32:33], v[14:15], v[38:39]
	v_add_f64 v[34:35], v[44:45], v[34:35]
	v_add_f64 v[36:37], v[40:41], -v[12:13]
	v_add_f64 v[38:39], v[46:47], v[28:29]
	v_fma_f64 v[28:29], v[14:15], 2.0, -v[32:33]
	v_fma_f64 v[30:31], v[30:31], 2.0, -v[34:35]
	;; [unrolled: 1-line block ×4, first 2 shown]
	ds_write2_b64 v52, v[32:33], v[34:35] offset0:102 offset1:119
	ds_write2_b64 v52, v[28:29], v[30:31] offset0:34 offset1:51
	;; [unrolled: 1-line block ×3, first 2 shown]
	ds_write2_b64 v52, v[12:13], v[14:15] offset1:17
	s_waitcnt lgkmcnt(0)
	s_barrier
	buffer_gl0_inv
	s_and_saveexec_b32 s1, s0
	s_cbranch_execnz .LBB0_20
; %bb.18:
	s_or_b32 exec_lo, exec_lo, s1
	s_and_b32 s0, vcc_lo, s0
	s_and_saveexec_b32 s1, s0
	s_cbranch_execnz .LBB0_21
.LBB0_19:
	s_endpgm
.LBB0_20:
	v_add_nc_u32_e32 v4, 0x800, v91
	v_add_nc_u32_e32 v5, 0x1000, v91
	;; [unrolled: 1-line block ×4, first 2 shown]
	ds_read2_b64 v[12:15], v91 offset1:136
	ds_read2_b64 v[28:31], v4 offset0:16 offset1:152
	ds_read2_b64 v[36:39], v5 offset0:32 offset1:168
	;; [unrolled: 1-line block ×4, first 2 shown]
	ds_read_b64 v[96:97], v91 offset:10880
	s_or_b32 exec_lo, exec_lo, s1
	s_and_b32 s0, vcc_lo, s0
	s_and_saveexec_b32 s1, s0
	s_cbranch_execz .LBB0_19
.LBB0_21:
	v_mul_u32_u24_e32 v40, 10, v90
	v_mov_b32_e32 v91, 0
	s_mov_b32 s4, 0x640f44db
	s_mov_b32 s12, 0x43842ef
	;; [unrolled: 1-line block ×3, first 2 shown]
	v_lshlrev_b32_e32 v76, 4, v40
	v_lshlrev_b64 v[80:81], 4, v[90:91]
	s_mov_b32 s10, 0xbb3a28a1
	s_mov_b32 s14, 0x8764f0ba
	;; [unrolled: 1-line block ×3, first 2 shown]
	v_add_co_u32 v64, s0, s8, v76
	v_add_co_ci_u32_e64 v65, null, s9, 0, s0
	s_clause 0x5
	global_load_dwordx4 v[44:47], v76, s[8:9] offset:1968
	global_load_dwordx4 v[40:43], v76, s[8:9] offset:1984
	;; [unrolled: 1-line block ×6, first 2 shown]
	v_add_co_u32 v68, vcc_lo, 0x7f0, v64
	v_add_co_ci_u32_e32 v69, vcc_lo, 0, v65, vcc_lo
	v_add_co_u32 v82, vcc_lo, s2, v92
	s_clause 0x3
	global_load_dwordx4 v[64:67], v76, s[8:9] offset:1904
	global_load_dwordx4 v[72:75], v76, s[8:9] offset:1920
	global_load_dwordx4 v[68:71], v[68:69], off offset:16
	global_load_dwordx4 v[76:79], v76, s[8:9] offset:2032
	v_add_co_ci_u32_e32 v83, vcc_lo, s3, v93, vcc_lo
	s_mov_b32 s0, 0xd9c712b6
	s_mov_b32 s8, 0x8eee2c13
	;; [unrolled: 1-line block ×24, first 2 shown]
	v_add_co_u32 v80, vcc_lo, v82, v80
	v_add_co_ci_u32_e32 v81, vcc_lo, v83, v81, vcc_lo
	v_add_co_u32 v82, vcc_lo, 0x800, v80
	v_add_co_ci_u32_e32 v83, vcc_lo, 0, v81, vcc_lo
	;; [unrolled: 2-line block ×5, first 2 shown]
	s_waitcnt vmcnt(9) lgkmcnt(3)
	v_mul_f64 v[88:89], v[38:39], v[44:45]
	s_waitcnt vmcnt(8) lgkmcnt(2)
	v_mul_f64 v[90:91], v[32:33], v[40:41]
	v_mul_f64 v[32:33], v[32:33], v[42:43]
	s_waitcnt vmcnt(6)
	v_mul_f64 v[98:99], v[34:35], v[48:49]
	v_mul_f64 v[34:35], v[34:35], v[50:51]
	s_waitcnt vmcnt(4) lgkmcnt(1)
	v_mul_f64 v[102:103], v[4:5], v[56:57]
	v_mul_f64 v[4:5], v[4:5], v[58:59]
	;; [unrolled: 1-line block ×4, first 2 shown]
	s_waitcnt vmcnt(3)
	v_mul_f64 v[106:107], v[14:15], v[64:65]
	v_mul_f64 v[14:15], v[14:15], v[66:67]
	s_waitcnt vmcnt(2)
	v_mul_f64 v[108:109], v[28:29], v[72:73]
	v_mul_f64 v[28:29], v[28:29], v[74:75]
	s_waitcnt vmcnt(1) lgkmcnt(0)
	v_mul_f64 v[110:111], v[96:97], v[68:69]
	v_mul_f64 v[96:97], v[96:97], v[70:71]
	s_waitcnt vmcnt(0)
	v_mul_f64 v[112:113], v[6:7], v[76:77]
	v_mul_f64 v[6:7], v[6:7], v[78:79]
	;; [unrolled: 1-line block ×5, first 2 shown]
	v_fma_f64 v[46:47], v[26:27], v[46:47], v[88:89]
	v_fma_f64 v[42:43], v[20:21], v[42:43], v[90:91]
	v_fma_f64 v[20:21], v[20:21], v[40:41], -v[32:33]
	v_fma_f64 v[50:51], v[22:23], v[50:51], v[98:99]
	v_fma_f64 v[22:23], v[22:23], v[48:49], -v[34:35]
	;; [unrolled: 2-line block ×3, first 2 shown]
	v_fma_f64 v[54:55], v[24:25], v[54:55], v[92:93]
	v_fma_f64 v[62:63], v[18:19], v[62:63], v[100:101]
	;; [unrolled: 1-line block ×3, first 2 shown]
	v_fma_f64 v[10:11], v[10:11], v[64:65], -v[14:15]
	v_fma_f64 v[14:15], v[16:17], v[74:75], v[108:109]
	v_fma_f64 v[16:17], v[16:17], v[72:73], -v[28:29]
	v_fma_f64 v[40:41], v[94:95], v[70:71], v[110:111]
	;; [unrolled: 2-line block ×3, first 2 shown]
	v_fma_f64 v[2:3], v[2:3], v[76:77], -v[6:7]
	v_fma_f64 v[18:19], v[18:19], v[60:61], -v[30:31]
	;; [unrolled: 1-line block ×4, first 2 shown]
	v_add_co_u32 v44, vcc_lo, 0x2800, v80
	v_add_co_ci_u32_e32 v45, vcc_lo, 0, v81, vcc_lo
	v_add_f64 v[6:7], v[46:47], v[42:43]
	v_add_f64 v[34:35], v[46:47], -v[42:43]
	v_add_co_u32 v52, vcc_lo, 0x3000, v80
	v_add_co_ci_u32_e32 v53, vcc_lo, 0, v81, vcc_lo
	v_add_f64 v[30:31], v[54:55], v[50:51]
	v_add_f64 v[68:69], v[12:13], v[4:5]
	;; [unrolled: 1-line block ×4, first 2 shown]
	v_add_f64 v[36:37], v[54:55], -v[50:51]
	v_add_f64 v[72:73], v[62:63], -v[58:59]
	v_add_f64 v[76:77], v[4:5], v[40:41]
	v_add_f64 v[88:89], v[14:15], v[28:29]
	v_add_f64 v[90:91], v[16:17], -v[2:3]
	v_add_f64 v[92:93], v[14:15], -v[28:29]
	v_add_f64 v[94:95], v[16:17], v[2:3]
	v_add_f64 v[4:5], v[4:5], -v[40:41]
	v_add_f64 v[38:39], v[26:27], -v[20:21]
	;; [unrolled: 1-line block ×4, first 2 shown]
	v_add_f64 v[64:65], v[26:27], v[20:21]
	v_add_f64 v[66:67], v[24:25], v[22:23]
	;; [unrolled: 1-line block ×3, first 2 shown]
	v_add_f64 v[78:79], v[10:11], -v[48:49]
	v_add_f64 v[10:11], v[10:11], v[48:49]
	v_mul_f64 v[96:97], v[6:7], s[4:5]
	v_mul_f64 v[102:103], v[34:35], s[24:25]
	;; [unrolled: 1-line block ×3, first 2 shown]
	v_add_f64 v[14:15], v[14:15], v[68:69]
	v_add_f64 v[16:17], v[16:17], v[70:71]
	v_mul_f64 v[100:101], v[32:33], s[6:7]
	v_mul_f64 v[106:107], v[36:37], s[22:23]
	;; [unrolled: 1-line block ×20, first 2 shown]
	v_add_f64 v[14:15], v[62:63], v[14:15]
	v_add_f64 v[16:17], v[18:19], v[16:17]
	v_mul_f64 v[34:35], v[34:35], s[30:31]
	v_mul_f64 v[36:37], v[36:37], s[26:27]
	;; [unrolled: 1-line block ×20, first 2 shown]
	v_add_f64 v[14:15], v[54:55], v[14:15]
	v_add_f64 v[16:17], v[24:25], v[16:17]
	v_mul_f64 v[164:165], v[88:89], s[6:7]
	v_mul_f64 v[88:89], v[88:89], s[0:1]
	;; [unrolled: 1-line block ×7, first 2 shown]
	v_fma_f64 v[174:175], v[38:39], s[12:13], v[96:97]
	v_fma_f64 v[176:177], v[56:57], s[8:9], v[98:99]
	;; [unrolled: 1-line block ×8, first 2 shown]
	v_fma_f64 v[102:103], v[64:65], s[4:5], -v[102:103]
	v_fma_f64 v[106:107], v[66:67], s[0:1], -v[106:107]
	v_fma_f64 v[184:185], v[38:39], s[8:9], v[108:109]
	v_fma_f64 v[186:187], v[56:57], s[20:21], v[110:111]
	;; [unrolled: 1-line block ×8, first 2 shown]
	v_fma_f64 v[114:115], v[64:65], s[0:1], -v[114:115]
	v_fma_f64 v[116:117], v[66:67], s[16:17], -v[116:117]
	v_fma_f64 v[194:195], v[38:39], s[10:11], v[118:119]
	v_fma_f64 v[196:197], v[56:57], s[28:29], v[120:121]
	v_fma_f64 v[198:199], v[60:61], s[8:9], v[122:123]
	v_fma_f64 v[200:201], v[64:65], s[6:7], v[124:125]
	v_fma_f64 v[118:119], v[38:39], s[26:27], v[118:119]
	v_fma_f64 v[120:121], v[56:57], s[18:19], v[120:121]
	v_fma_f64 v[122:123], v[60:61], s[22:23], v[122:123]
	v_fma_f64 v[124:125], v[64:65], s[6:7], -v[124:125]
	v_fma_f64 v[202:203], v[38:39], s[18:19], v[128:129]
	v_fma_f64 v[204:205], v[56:57], s[24:25], v[130:131]
	v_fma_f64 v[206:207], v[60:61], s[30:31], v[132:133]
	v_fma_f64 v[208:209], v[64:65], s[14:15], v[134:135]
	v_fma_f64 v[128:129], v[38:39], s[28:29], v[128:129]
	v_fma_f64 v[130:131], v[56:57], s[12:13], v[130:131]
	v_fma_f64 v[132:133], v[60:61], s[20:21], v[132:133]
	;; [unrolled: 8-line block ×3, first 2 shown]
	v_fma_f64 v[34:35], v[64:65], s[16:17], -v[34:35]
	v_fma_f64 v[64:65], v[66:67], s[14:15], v[126:127]
	v_fma_f64 v[126:127], v[66:67], s[14:15], -v[126:127]
	v_fma_f64 v[212:213], v[66:67], s[4:5], v[136:137]
	;; [unrolled: 2-line block ×9, first 2 shown]
	v_fma_f64 v[62:63], v[78:79], s[30:31], v[68:69]
	v_fma_f64 v[68:69], v[78:79], s[10:11], v[146:147]
	;; [unrolled: 1-line block ×10, first 2 shown]
	v_fma_f64 v[70:71], v[10:11], s[16:17], -v[70:71]
	v_fma_f64 v[234:235], v[10:11], s[14:15], v[4:5]
	v_fma_f64 v[4:5], v[10:11], s[14:15], -v[4:5]
	v_fma_f64 v[228:229], v[10:11], s[6:7], v[148:149]
	;; [unrolled: 2-line block ×4, first 2 shown]
	v_fma_f64 v[152:153], v[10:11], s[4:5], -v[152:153]
	v_add_f64 v[14:15], v[46:47], v[14:15]
	v_add_f64 v[16:17], v[26:27], v[16:17]
	v_fma_f64 v[10:11], v[90:91], s[18:19], v[158:159]
	v_fma_f64 v[158:159], v[90:91], s[28:29], v[158:159]
	;; [unrolled: 1-line block ×11, first 2 shown]
	v_fma_f64 v[166:167], v[94:95], s[14:15], -v[166:167]
	v_fma_f64 v[246:247], v[94:95], s[0:1], v[92:93]
	v_fma_f64 v[92:93], v[94:95], s[0:1], -v[92:93]
	v_add_f64 v[18:19], v[12:13], v[18:19]
	v_add_f64 v[26:27], v[8:9], v[78:79]
	;; [unrolled: 1-line block ×7, first 2 shown]
	v_fma_f64 v[240:241], v[94:95], s[4:5], v[168:169]
	v_fma_f64 v[168:169], v[94:95], s[4:5], -v[168:169]
	v_fma_f64 v[244:245], v[94:95], s[6:7], v[172:173]
	v_fma_f64 v[172:173], v[94:95], s[6:7], -v[172:173]
	v_add_f64 v[68:69], v[12:13], v[68:69]
	v_add_f64 v[70:71], v[8:9], v[228:229]
	;; [unrolled: 1-line block ×7, first 2 shown]
	v_fma_f64 v[242:243], v[94:95], s[16:17], v[170:171]
	v_fma_f64 v[170:171], v[94:95], s[16:17], -v[170:171]
	v_add_f64 v[152:153], v[8:9], v[152:153]
	v_add_f64 v[156:157], v[8:9], v[230:231]
	v_add_f64 v[224:225], v[12:13], v[224:225]
	v_add_f64 v[228:229], v[8:9], v[232:233]
	v_add_f64 v[14:15], v[42:43], v[14:15]
	v_add_f64 v[16:17], v[20:21], v[16:17]
	v_add_f64 v[12:13], v[12:13], v[226:227]
	v_add_f64 v[8:9], v[8:9], v[234:235]
	v_add_f64 v[10:11], v[10:11], v[18:19]
	v_add_f64 v[18:19], v[90:91], v[26:27]
	v_add_f64 v[26:27], v[166:167], v[62:63]
	v_add_f64 v[62:63], v[160:161], v[74:75]
	v_add_f64 v[74:75], v[88:89], v[76:77]
	v_add_f64 v[4:5], v[92:93], v[4:5]
	v_add_f64 v[20:21], v[158:159], v[46:47]
	v_add_f64 v[42:43], v[236:237], v[68:69]
	v_add_f64 v[46:47], v[240:241], v[70:71]
	v_add_f64 v[68:69], v[168:169], v[78:79]
	v_add_f64 v[24:25], v[24:25], v[146:147]
	v_add_f64 v[54:55], v[54:55], v[148:149]
	v_add_f64 v[70:71], v[164:165], v[150:151]
	v_add_f64 v[76:77], v[172:173], v[154:155]
	v_add_f64 v[78:79], v[170:171], v[152:153]
	v_add_f64 v[88:89], v[242:243], v[156:157]
	v_add_f64 v[90:91], v[162:163], v[224:225]
	v_add_f64 v[92:93], v[244:245], v[228:229]
	v_add_f64 v[14:15], v[50:51], v[14:15]
	v_add_f64 v[16:17], v[22:23], v[16:17]
	v_add_f64 v[12:13], v[238:239], v[12:13]
	v_add_f64 v[8:9], v[246:247], v[8:9]
	v_add_f64 v[10:11], v[178:179], v[10:11]
	v_add_f64 v[18:19], v[66:67], v[18:19]
	v_add_f64 v[22:23], v[138:139], v[26:27]
	v_add_co_u32 v94, vcc_lo, 0x3800, v80
	v_add_f64 v[32:33], v[32:33], v[74:75]
	v_add_f64 v[4:5], v[72:73], v[4:5]
	;; [unrolled: 1-line block ×21, first 2 shown]
	v_add_co_ci_u32_e32 v95, vcc_lo, 0, v81, vcc_lo
	v_add_f64 v[30:31], v[30:31], v[32:33]
	v_add_f64 v[32:33], v[36:37], v[4:5]
	;; [unrolled: 1-line block ×42, first 2 shown]
	v_add_co_u32 v46, vcc_lo, 0x4000, v80
	v_add_co_ci_u32_e32 v47, vcc_lo, 0, v81, vcc_lo
	v_add_co_u32 v48, vcc_lo, 0x4800, v80
	v_add_co_ci_u32_e32 v49, vcc_lo, 0, v81, vcc_lo
	;; [unrolled: 2-line block ×3, first 2 shown]
	global_store_dwordx4 v[82:83], v[28:31], off offset:128
	global_store_dwordx4 v[84:85], v[24:27], off offset:256
	;; [unrolled: 1-line block ×9, first 2 shown]
	global_store_dwordx4 v[80:81], v[40:43], off
	global_store_dwordx4 v[50:51], v[36:39], off offset:1280
	s_endpgm
	.section	.rodata,"a",@progbits
	.p2align	6, 0x0
	.amdhsa_kernel fft_rtc_fwd_len1496_factors_17_8_11_wgs_187_tpt_187_halfLds_dp_ip_CI_unitstride_sbrr_dirReg
		.amdhsa_group_segment_fixed_size 0
		.amdhsa_private_segment_fixed_size 0
		.amdhsa_kernarg_size 88
		.amdhsa_user_sgpr_count 6
		.amdhsa_user_sgpr_private_segment_buffer 1
		.amdhsa_user_sgpr_dispatch_ptr 0
		.amdhsa_user_sgpr_queue_ptr 0
		.amdhsa_user_sgpr_kernarg_segment_ptr 1
		.amdhsa_user_sgpr_dispatch_id 0
		.amdhsa_user_sgpr_flat_scratch_init 0
		.amdhsa_user_sgpr_private_segment_size 0
		.amdhsa_wavefront_size32 1
		.amdhsa_uses_dynamic_stack 0
		.amdhsa_system_sgpr_private_segment_wavefront_offset 0
		.amdhsa_system_sgpr_workgroup_id_x 1
		.amdhsa_system_sgpr_workgroup_id_y 0
		.amdhsa_system_sgpr_workgroup_id_z 0
		.amdhsa_system_sgpr_workgroup_info 0
		.amdhsa_system_vgpr_workitem_id 0
		.amdhsa_next_free_vgpr 254
		.amdhsa_next_free_sgpr 56
		.amdhsa_reserve_vcc 1
		.amdhsa_reserve_flat_scratch 0
		.amdhsa_float_round_mode_32 0
		.amdhsa_float_round_mode_16_64 0
		.amdhsa_float_denorm_mode_32 3
		.amdhsa_float_denorm_mode_16_64 3
		.amdhsa_dx10_clamp 1
		.amdhsa_ieee_mode 1
		.amdhsa_fp16_overflow 0
		.amdhsa_workgroup_processor_mode 1
		.amdhsa_memory_ordered 1
		.amdhsa_forward_progress 0
		.amdhsa_shared_vgpr_count 0
		.amdhsa_exception_fp_ieee_invalid_op 0
		.amdhsa_exception_fp_denorm_src 0
		.amdhsa_exception_fp_ieee_div_zero 0
		.amdhsa_exception_fp_ieee_overflow 0
		.amdhsa_exception_fp_ieee_underflow 0
		.amdhsa_exception_fp_ieee_inexact 0
		.amdhsa_exception_int_div_zero 0
	.end_amdhsa_kernel
	.text
.Lfunc_end0:
	.size	fft_rtc_fwd_len1496_factors_17_8_11_wgs_187_tpt_187_halfLds_dp_ip_CI_unitstride_sbrr_dirReg, .Lfunc_end0-fft_rtc_fwd_len1496_factors_17_8_11_wgs_187_tpt_187_halfLds_dp_ip_CI_unitstride_sbrr_dirReg
                                        ; -- End function
	.section	.AMDGPU.csdata,"",@progbits
; Kernel info:
; codeLenInByte = 12912
; NumSgprs: 58
; NumVgprs: 254
; ScratchSize: 0
; MemoryBound: 1
; FloatMode: 240
; IeeeMode: 1
; LDSByteSize: 0 bytes/workgroup (compile time only)
; SGPRBlocks: 7
; VGPRBlocks: 31
; NumSGPRsForWavesPerEU: 58
; NumVGPRsForWavesPerEU: 254
; Occupancy: 4
; WaveLimiterHint : 1
; COMPUTE_PGM_RSRC2:SCRATCH_EN: 0
; COMPUTE_PGM_RSRC2:USER_SGPR: 6
; COMPUTE_PGM_RSRC2:TRAP_HANDLER: 0
; COMPUTE_PGM_RSRC2:TGID_X_EN: 1
; COMPUTE_PGM_RSRC2:TGID_Y_EN: 0
; COMPUTE_PGM_RSRC2:TGID_Z_EN: 0
; COMPUTE_PGM_RSRC2:TIDIG_COMP_CNT: 0
	.text
	.p2alignl 6, 3214868480
	.fill 48, 4, 3214868480
	.type	__hip_cuid_cb15093f19bfdf19,@object ; @__hip_cuid_cb15093f19bfdf19
	.section	.bss,"aw",@nobits
	.globl	__hip_cuid_cb15093f19bfdf19
__hip_cuid_cb15093f19bfdf19:
	.byte	0                               ; 0x0
	.size	__hip_cuid_cb15093f19bfdf19, 1

	.ident	"AMD clang version 19.0.0git (https://github.com/RadeonOpenCompute/llvm-project roc-6.4.0 25133 c7fe45cf4b819c5991fe208aaa96edf142730f1d)"
	.section	".note.GNU-stack","",@progbits
	.addrsig
	.addrsig_sym __hip_cuid_cb15093f19bfdf19
	.amdgpu_metadata
---
amdhsa.kernels:
  - .args:
      - .actual_access:  read_only
        .address_space:  global
        .offset:         0
        .size:           8
        .value_kind:     global_buffer
      - .offset:         8
        .size:           8
        .value_kind:     by_value
      - .actual_access:  read_only
        .address_space:  global
        .offset:         16
        .size:           8
        .value_kind:     global_buffer
      - .actual_access:  read_only
        .address_space:  global
        .offset:         24
        .size:           8
        .value_kind:     global_buffer
      - .offset:         32
        .size:           8
        .value_kind:     by_value
      - .actual_access:  read_only
        .address_space:  global
        .offset:         40
        .size:           8
        .value_kind:     global_buffer
      - .actual_access:  read_only
        .address_space:  global
        .offset:         48
        .size:           8
        .value_kind:     global_buffer
      - .offset:         56
        .size:           4
        .value_kind:     by_value
      - .actual_access:  read_only
        .address_space:  global
        .offset:         64
        .size:           8
        .value_kind:     global_buffer
      - .actual_access:  read_only
        .address_space:  global
        .offset:         72
        .size:           8
        .value_kind:     global_buffer
      - .address_space:  global
        .offset:         80
        .size:           8
        .value_kind:     global_buffer
    .group_segment_fixed_size: 0
    .kernarg_segment_align: 8
    .kernarg_segment_size: 88
    .language:       OpenCL C
    .language_version:
      - 2
      - 0
    .max_flat_workgroup_size: 187
    .name:           fft_rtc_fwd_len1496_factors_17_8_11_wgs_187_tpt_187_halfLds_dp_ip_CI_unitstride_sbrr_dirReg
    .private_segment_fixed_size: 0
    .sgpr_count:     58
    .sgpr_spill_count: 0
    .symbol:         fft_rtc_fwd_len1496_factors_17_8_11_wgs_187_tpt_187_halfLds_dp_ip_CI_unitstride_sbrr_dirReg.kd
    .uniform_work_group_size: 1
    .uses_dynamic_stack: false
    .vgpr_count:     254
    .vgpr_spill_count: 0
    .wavefront_size: 32
    .workgroup_processor_mode: 1
amdhsa.target:   amdgcn-amd-amdhsa--gfx1030
amdhsa.version:
  - 1
  - 2
...

	.end_amdgpu_metadata
